;; amdgpu-corpus repo=ROCm/rocFFT kind=compiled arch=gfx1201 opt=O3
	.text
	.amdgcn_target "amdgcn-amd-amdhsa--gfx1201"
	.amdhsa_code_object_version 6
	.protected	fft_rtc_fwd_len702_factors_13_3_6_3_wgs_117_tpt_117_halfLds_sp_ip_CI_unitstride_sbrr_R2C_dirReg ; -- Begin function fft_rtc_fwd_len702_factors_13_3_6_3_wgs_117_tpt_117_halfLds_sp_ip_CI_unitstride_sbrr_R2C_dirReg
	.globl	fft_rtc_fwd_len702_factors_13_3_6_3_wgs_117_tpt_117_halfLds_sp_ip_CI_unitstride_sbrr_R2C_dirReg
	.p2align	8
	.type	fft_rtc_fwd_len702_factors_13_3_6_3_wgs_117_tpt_117_halfLds_sp_ip_CI_unitstride_sbrr_R2C_dirReg,@function
fft_rtc_fwd_len702_factors_13_3_6_3_wgs_117_tpt_117_halfLds_sp_ip_CI_unitstride_sbrr_R2C_dirReg: ; @fft_rtc_fwd_len702_factors_13_3_6_3_wgs_117_tpt_117_halfLds_sp_ip_CI_unitstride_sbrr_R2C_dirReg
; %bb.0:
	s_clause 0x2
	s_load_b128 s[4:7], s[0:1], 0x0
	s_load_b64 s[8:9], s[0:1], 0x50
	s_load_b64 s[10:11], s[0:1], 0x18
	v_mul_u32_u24_e32 v1, 0x231, v0
	v_mov_b32_e32 v3, 0
	s_delay_alu instid0(VALU_DEP_2) | instskip(NEXT) | instid1(VALU_DEP_1)
	v_lshrrev_b32_e32 v1, 16, v1
	v_add_nc_u32_e32 v5, ttmp9, v1
	v_mov_b32_e32 v1, 0
	v_mov_b32_e32 v2, 0
	;; [unrolled: 1-line block ×3, first 2 shown]
	s_wait_kmcnt 0x0
	v_cmp_lt_u64_e64 s2, s[6:7], 2
	s_delay_alu instid0(VALU_DEP_1)
	s_and_b32 vcc_lo, exec_lo, s2
	s_cbranch_vccnz .LBB0_8
; %bb.1:
	s_load_b64 s[2:3], s[0:1], 0x10
	v_mov_b32_e32 v1, 0
	v_mov_b32_e32 v2, 0
	s_add_nc_u64 s[12:13], s[10:11], 8
	s_mov_b64 s[14:15], 1
	s_wait_kmcnt 0x0
	s_add_nc_u64 s[16:17], s[2:3], 8
	s_mov_b32 s3, 0
.LBB0_2:                                ; =>This Inner Loop Header: Depth=1
	s_load_b64 s[18:19], s[16:17], 0x0
                                        ; implicit-def: $vgpr7_vgpr8
	s_mov_b32 s2, exec_lo
	s_wait_kmcnt 0x0
	v_or_b32_e32 v4, s19, v6
	s_delay_alu instid0(VALU_DEP_1)
	v_cmpx_ne_u64_e32 0, v[3:4]
	s_wait_alu 0xfffe
	s_xor_b32 s20, exec_lo, s2
	s_cbranch_execz .LBB0_4
; %bb.3:                                ;   in Loop: Header=BB0_2 Depth=1
	s_cvt_f32_u32 s2, s18
	s_cvt_f32_u32 s21, s19
	s_sub_nc_u64 s[24:25], 0, s[18:19]
	s_wait_alu 0xfffe
	s_delay_alu instid0(SALU_CYCLE_1) | instskip(SKIP_1) | instid1(SALU_CYCLE_2)
	s_fmamk_f32 s2, s21, 0x4f800000, s2
	s_wait_alu 0xfffe
	v_s_rcp_f32 s2, s2
	s_delay_alu instid0(TRANS32_DEP_1) | instskip(SKIP_1) | instid1(SALU_CYCLE_2)
	s_mul_f32 s2, s2, 0x5f7ffffc
	s_wait_alu 0xfffe
	s_mul_f32 s21, s2, 0x2f800000
	s_wait_alu 0xfffe
	s_delay_alu instid0(SALU_CYCLE_2) | instskip(SKIP_1) | instid1(SALU_CYCLE_2)
	s_trunc_f32 s21, s21
	s_wait_alu 0xfffe
	s_fmamk_f32 s2, s21, 0xcf800000, s2
	s_cvt_u32_f32 s23, s21
	s_wait_alu 0xfffe
	s_delay_alu instid0(SALU_CYCLE_1) | instskip(SKIP_1) | instid1(SALU_CYCLE_2)
	s_cvt_u32_f32 s22, s2
	s_wait_alu 0xfffe
	s_mul_u64 s[26:27], s[24:25], s[22:23]
	s_wait_alu 0xfffe
	s_mul_hi_u32 s29, s22, s27
	s_mul_i32 s28, s22, s27
	s_mul_hi_u32 s2, s22, s26
	s_mul_i32 s30, s23, s26
	s_wait_alu 0xfffe
	s_add_nc_u64 s[28:29], s[2:3], s[28:29]
	s_mul_hi_u32 s21, s23, s26
	s_mul_hi_u32 s31, s23, s27
	s_add_co_u32 s2, s28, s30
	s_wait_alu 0xfffe
	s_add_co_ci_u32 s2, s29, s21
	s_mul_i32 s26, s23, s27
	s_add_co_ci_u32 s27, s31, 0
	s_wait_alu 0xfffe
	s_add_nc_u64 s[26:27], s[2:3], s[26:27]
	s_wait_alu 0xfffe
	v_add_co_u32 v4, s2, s22, s26
	s_delay_alu instid0(VALU_DEP_1) | instskip(SKIP_1) | instid1(VALU_DEP_1)
	s_cmp_lg_u32 s2, 0
	s_add_co_ci_u32 s23, s23, s27
	v_readfirstlane_b32 s22, v4
	s_wait_alu 0xfffe
	s_delay_alu instid0(VALU_DEP_1)
	s_mul_u64 s[24:25], s[24:25], s[22:23]
	s_wait_alu 0xfffe
	s_mul_hi_u32 s27, s22, s25
	s_mul_i32 s26, s22, s25
	s_mul_hi_u32 s2, s22, s24
	s_mul_i32 s28, s23, s24
	s_wait_alu 0xfffe
	s_add_nc_u64 s[26:27], s[2:3], s[26:27]
	s_mul_hi_u32 s21, s23, s24
	s_mul_hi_u32 s22, s23, s25
	s_wait_alu 0xfffe
	s_add_co_u32 s2, s26, s28
	s_add_co_ci_u32 s2, s27, s21
	s_mul_i32 s24, s23, s25
	s_add_co_ci_u32 s25, s22, 0
	s_wait_alu 0xfffe
	s_add_nc_u64 s[24:25], s[2:3], s[24:25]
	s_wait_alu 0xfffe
	v_add_co_u32 v4, s2, v4, s24
	s_delay_alu instid0(VALU_DEP_1) | instskip(SKIP_1) | instid1(VALU_DEP_1)
	s_cmp_lg_u32 s2, 0
	s_add_co_ci_u32 s2, s23, s25
	v_mul_hi_u32 v13, v5, v4
	s_wait_alu 0xfffe
	v_mad_co_u64_u32 v[7:8], null, v5, s2, 0
	v_mad_co_u64_u32 v[9:10], null, v6, v4, 0
	;; [unrolled: 1-line block ×3, first 2 shown]
	s_delay_alu instid0(VALU_DEP_3) | instskip(SKIP_1) | instid1(VALU_DEP_4)
	v_add_co_u32 v4, vcc_lo, v13, v7
	s_wait_alu 0xfffd
	v_add_co_ci_u32_e32 v7, vcc_lo, 0, v8, vcc_lo
	s_delay_alu instid0(VALU_DEP_2) | instskip(SKIP_1) | instid1(VALU_DEP_2)
	v_add_co_u32 v4, vcc_lo, v4, v9
	s_wait_alu 0xfffd
	v_add_co_ci_u32_e32 v4, vcc_lo, v7, v10, vcc_lo
	s_wait_alu 0xfffd
	v_add_co_ci_u32_e32 v7, vcc_lo, 0, v12, vcc_lo
	s_delay_alu instid0(VALU_DEP_2) | instskip(SKIP_1) | instid1(VALU_DEP_2)
	v_add_co_u32 v4, vcc_lo, v4, v11
	s_wait_alu 0xfffd
	v_add_co_ci_u32_e32 v9, vcc_lo, 0, v7, vcc_lo
	s_delay_alu instid0(VALU_DEP_2) | instskip(SKIP_1) | instid1(VALU_DEP_3)
	v_mul_lo_u32 v10, s19, v4
	v_mad_co_u64_u32 v[7:8], null, s18, v4, 0
	v_mul_lo_u32 v11, s18, v9
	s_delay_alu instid0(VALU_DEP_2) | instskip(NEXT) | instid1(VALU_DEP_2)
	v_sub_co_u32 v7, vcc_lo, v5, v7
	v_add3_u32 v8, v8, v11, v10
	s_delay_alu instid0(VALU_DEP_1) | instskip(SKIP_1) | instid1(VALU_DEP_1)
	v_sub_nc_u32_e32 v10, v6, v8
	s_wait_alu 0xfffd
	v_subrev_co_ci_u32_e64 v10, s2, s19, v10, vcc_lo
	v_add_co_u32 v11, s2, v4, 2
	s_wait_alu 0xf1ff
	v_add_co_ci_u32_e64 v12, s2, 0, v9, s2
	v_sub_co_u32 v13, s2, v7, s18
	v_sub_co_ci_u32_e32 v8, vcc_lo, v6, v8, vcc_lo
	s_wait_alu 0xf1ff
	v_subrev_co_ci_u32_e64 v10, s2, 0, v10, s2
	s_delay_alu instid0(VALU_DEP_3) | instskip(NEXT) | instid1(VALU_DEP_3)
	v_cmp_le_u32_e32 vcc_lo, s18, v13
	v_cmp_eq_u32_e64 s2, s19, v8
	s_wait_alu 0xfffd
	v_cndmask_b32_e64 v13, 0, -1, vcc_lo
	v_cmp_le_u32_e32 vcc_lo, s19, v10
	s_wait_alu 0xfffd
	v_cndmask_b32_e64 v14, 0, -1, vcc_lo
	v_cmp_le_u32_e32 vcc_lo, s18, v7
	;; [unrolled: 3-line block ×3, first 2 shown]
	s_wait_alu 0xfffd
	v_cndmask_b32_e64 v15, 0, -1, vcc_lo
	v_cmp_eq_u32_e32 vcc_lo, s19, v10
	s_wait_alu 0xf1ff
	s_delay_alu instid0(VALU_DEP_2)
	v_cndmask_b32_e64 v7, v15, v7, s2
	s_wait_alu 0xfffd
	v_cndmask_b32_e32 v10, v14, v13, vcc_lo
	v_add_co_u32 v13, vcc_lo, v4, 1
	s_wait_alu 0xfffd
	v_add_co_ci_u32_e32 v14, vcc_lo, 0, v9, vcc_lo
	s_delay_alu instid0(VALU_DEP_3) | instskip(SKIP_2) | instid1(VALU_DEP_3)
	v_cmp_ne_u32_e32 vcc_lo, 0, v10
	s_wait_alu 0xfffd
	v_cndmask_b32_e32 v10, v13, v11, vcc_lo
	v_cndmask_b32_e32 v8, v14, v12, vcc_lo
	v_cmp_ne_u32_e32 vcc_lo, 0, v7
	s_wait_alu 0xfffd
	s_delay_alu instid0(VALU_DEP_2)
	v_dual_cndmask_b32 v7, v4, v10 :: v_dual_cndmask_b32 v8, v9, v8
.LBB0_4:                                ;   in Loop: Header=BB0_2 Depth=1
	s_wait_alu 0xfffe
	s_and_not1_saveexec_b32 s2, s20
	s_cbranch_execz .LBB0_6
; %bb.5:                                ;   in Loop: Header=BB0_2 Depth=1
	v_cvt_f32_u32_e32 v4, s18
	s_sub_co_i32 s20, 0, s18
	s_delay_alu instid0(VALU_DEP_1) | instskip(NEXT) | instid1(TRANS32_DEP_1)
	v_rcp_iflag_f32_e32 v4, v4
	v_mul_f32_e32 v4, 0x4f7ffffe, v4
	s_delay_alu instid0(VALU_DEP_1) | instskip(SKIP_1) | instid1(VALU_DEP_1)
	v_cvt_u32_f32_e32 v4, v4
	s_wait_alu 0xfffe
	v_mul_lo_u32 v7, s20, v4
	s_delay_alu instid0(VALU_DEP_1) | instskip(NEXT) | instid1(VALU_DEP_1)
	v_mul_hi_u32 v7, v4, v7
	v_add_nc_u32_e32 v4, v4, v7
	s_delay_alu instid0(VALU_DEP_1) | instskip(NEXT) | instid1(VALU_DEP_1)
	v_mul_hi_u32 v4, v5, v4
	v_mul_lo_u32 v7, v4, s18
	v_add_nc_u32_e32 v8, 1, v4
	s_delay_alu instid0(VALU_DEP_2) | instskip(NEXT) | instid1(VALU_DEP_1)
	v_sub_nc_u32_e32 v7, v5, v7
	v_subrev_nc_u32_e32 v9, s18, v7
	v_cmp_le_u32_e32 vcc_lo, s18, v7
	s_wait_alu 0xfffd
	s_delay_alu instid0(VALU_DEP_2) | instskip(NEXT) | instid1(VALU_DEP_1)
	v_dual_cndmask_b32 v7, v7, v9 :: v_dual_cndmask_b32 v4, v4, v8
	v_cmp_le_u32_e32 vcc_lo, s18, v7
	s_delay_alu instid0(VALU_DEP_2) | instskip(SKIP_1) | instid1(VALU_DEP_1)
	v_add_nc_u32_e32 v8, 1, v4
	s_wait_alu 0xfffd
	v_dual_cndmask_b32 v7, v4, v8 :: v_dual_mov_b32 v8, v3
.LBB0_6:                                ;   in Loop: Header=BB0_2 Depth=1
	s_wait_alu 0xfffe
	s_or_b32 exec_lo, exec_lo, s2
	s_load_b64 s[20:21], s[12:13], 0x0
	s_delay_alu instid0(VALU_DEP_1)
	v_mul_lo_u32 v4, v8, s18
	v_mul_lo_u32 v11, v7, s19
	v_mad_co_u64_u32 v[9:10], null, v7, s18, 0
	s_add_nc_u64 s[14:15], s[14:15], 1
	s_add_nc_u64 s[12:13], s[12:13], 8
	s_wait_alu 0xfffe
	v_cmp_ge_u64_e64 s2, s[14:15], s[6:7]
	s_add_nc_u64 s[16:17], s[16:17], 8
	s_delay_alu instid0(VALU_DEP_2) | instskip(NEXT) | instid1(VALU_DEP_3)
	v_add3_u32 v4, v10, v11, v4
	v_sub_co_u32 v5, vcc_lo, v5, v9
	s_wait_alu 0xfffd
	s_delay_alu instid0(VALU_DEP_2) | instskip(SKIP_3) | instid1(VALU_DEP_2)
	v_sub_co_ci_u32_e32 v4, vcc_lo, v6, v4, vcc_lo
	s_and_b32 vcc_lo, exec_lo, s2
	s_wait_kmcnt 0x0
	v_mul_lo_u32 v6, s21, v5
	v_mul_lo_u32 v4, s20, v4
	v_mad_co_u64_u32 v[1:2], null, s20, v5, v[1:2]
	s_delay_alu instid0(VALU_DEP_1)
	v_add3_u32 v2, v6, v2, v4
	s_wait_alu 0xfffe
	s_cbranch_vccnz .LBB0_9
; %bb.7:                                ;   in Loop: Header=BB0_2 Depth=1
	v_dual_mov_b32 v5, v7 :: v_dual_mov_b32 v6, v8
	s_branch .LBB0_2
.LBB0_8:
	v_dual_mov_b32 v8, v6 :: v_dual_mov_b32 v7, v5
.LBB0_9:
	s_lshl_b64 s[2:3], s[6:7], 3
	v_mul_hi_u32 v3, 0x2302303, v0
	s_wait_alu 0xfffe
	s_add_nc_u64 s[2:3], s[10:11], s[2:3]
	s_load_b64 s[2:3], s[2:3], 0x0
	s_load_b64 s[0:1], s[0:1], 0x20
	s_delay_alu instid0(VALU_DEP_1) | instskip(NEXT) | instid1(VALU_DEP_1)
	v_mul_u32_u24_e32 v3, 0x75, v3
	v_sub_nc_u32_e32 v24, v0, v3
	s_delay_alu instid0(VALU_DEP_1)
	v_lshl_add_u32 v32, v24, 3, 0
	s_wait_kmcnt 0x0
	v_mul_lo_u32 v4, s2, v8
	v_mul_lo_u32 v5, s3, v7
	v_mad_co_u64_u32 v[1:2], null, s2, v7, v[1:2]
	v_cmp_gt_u64_e32 vcc_lo, s[0:1], v[7:8]
	s_delay_alu instid0(VALU_DEP_2) | instskip(NEXT) | instid1(VALU_DEP_1)
	v_add3_u32 v2, v5, v2, v4
	v_lshlrev_b64_e32 v[26:27], 3, v[1:2]
	s_and_saveexec_b32 s1, vcc_lo
	s_cbranch_execz .LBB0_11
; %bb.10:
	v_dual_mov_b32 v25, 0 :: v_dual_add_nc_u32 v12, 0x400, v32
	s_delay_alu instid0(VALU_DEP_2) | instskip(SKIP_2) | instid1(VALU_DEP_3)
	v_add_co_u32 v2, s0, s8, v26
	s_wait_alu 0xf1ff
	v_add_co_ci_u32_e64 v3, s0, s9, v27, s0
	v_lshlrev_b64_e32 v[0:1], 3, v[24:25]
	v_add_nc_u32_e32 v13, 0xc00, v32
	s_delay_alu instid0(VALU_DEP_2) | instskip(SKIP_1) | instid1(VALU_DEP_3)
	v_add_co_u32 v0, s0, v2, v0
	s_wait_alu 0xf1ff
	v_add_co_ci_u32_e64 v1, s0, v3, v1, s0
	s_clause 0x5
	global_load_b64 v[2:3], v[0:1], off
	global_load_b64 v[4:5], v[0:1], off offset:936
	global_load_b64 v[6:7], v[0:1], off offset:1872
	;; [unrolled: 1-line block ×5, first 2 shown]
	s_wait_loadcnt 0x4
	ds_store_2addr_b64 v32, v[2:3], v[4:5] offset1:117
	s_wait_loadcnt 0x2
	ds_store_2addr_b64 v12, v[6:7], v[8:9] offset0:106 offset1:223
	s_wait_loadcnt 0x0
	ds_store_2addr_b64 v13, v[10:11], v[0:1] offset0:84 offset1:201
.LBB0_11:
	s_wait_alu 0xfffe
	s_or_b32 exec_lo, exec_lo, s1
	v_add_nc_u32_e32 v25, 0x400, v32
	v_add_nc_u32_e32 v33, 0x800, v32
	;; [unrolled: 1-line block ×3, first 2 shown]
	global_wb scope:SCOPE_SE
	s_wait_dscnt 0x0
	s_barrier_signal -1
	s_barrier_wait -1
	global_inv scope:SCOPE_SE
	ds_load_2addr_b64 v[0:3], v32 offset1:54
	ds_load_2addr_b64 v[20:23], v32 offset0:108 offset1:162
	ds_load_2addr_b64 v[16:19], v25 offset0:88 offset1:142
	;; [unrolled: 1-line block ×5, first 2 shown]
	ds_load_b64 v[30:31], v32 offset:5184
	s_mov_b32 s1, exec_lo
	global_wb scope:SCOPE_SE
	s_wait_dscnt 0x0
	s_barrier_signal -1
	s_barrier_wait -1
	global_inv scope:SCOPE_SE
	v_cmpx_gt_u32_e32 54, v24
	s_cbranch_execz .LBB0_13
; %bb.12:
	v_dual_sub_f32 v69, v2, v30 :: v_dual_add_f32 v38, v31, v3
	v_dual_sub_f32 v66, v20, v6 :: v_dual_add_f32 v37, v7, v21
	;; [unrolled: 1-line block ×3, first 2 shown]
	s_delay_alu instid0(VALU_DEP_3) | instskip(SKIP_1) | instid1(VALU_DEP_2)
	v_dual_mul_f32 v55, 0xbe750f2a, v69 :: v_dual_sub_f32 v64, v18, v8
	v_dual_sub_f32 v63, v16, v10 :: v_dual_add_f32 v34, v11, v17
	v_dual_add_f32 v35, v9, v19 :: v_dual_fmamk_f32 v28, v38, 0xbf788fa5, v55
	v_mul_f32_e32 v51, 0x3eedf032, v66
	v_dual_mul_f32 v52, 0xbf29c268, v65 :: v_dual_add_f32 v39, v30, v2
	v_sub_f32_e32 v74, v3, v31
	s_delay_alu instid0(VALU_DEP_4) | instskip(NEXT) | instid1(VALU_DEP_4)
	v_add_f32_e32 v28, v1, v28
	v_fmamk_f32 v29, v37, 0x3f62ad3f, v51
	v_mul_f32_e32 v47, 0x3f52af12, v63
	v_dual_fmamk_f32 v41, v36, 0xbf3f9e67, v52 :: v_dual_add_f32 v40, v6, v20
	v_dual_mul_f32 v62, 0xbe750f2a, v74 :: v_dual_sub_f32 v75, v21, v7
	s_delay_alu instid0(VALU_DEP_3) | instskip(SKIP_1) | instid1(VALU_DEP_3)
	v_dual_add_f32 v28, v29, v28 :: v_dual_fmamk_f32 v29, v34, 0x3f116cb1, v47
	v_sub_f32_e32 v76, v23, v5
	v_dual_add_f32 v42, v4, v22 :: v_dual_mul_f32 v61, 0x3eedf032, v75
	s_delay_alu instid0(VALU_DEP_3)
	v_add_f32_e32 v28, v41, v28
	v_fma_f32 v41, 0xbf788fa5, v39, -v62
	v_mul_f32_e32 v50, 0xbf6f5d39, v64
	v_mul_f32_e32 v57, 0xbf29c268, v76
	v_fma_f32 v43, 0x3f62ad3f, v40, -v61
	v_sub_f32_e32 v78, v19, v9
	v_dual_add_f32 v41, v0, v41 :: v_dual_add_f32 v28, v29, v28
	v_fmamk_f32 v29, v35, 0xbeb58ec6, v50
	v_sub_f32_e32 v73, v12, v14
	v_sub_f32_e32 v77, v17, v11
	v_fma_f32 v44, 0xbf3f9e67, v42, -v57
	v_dual_sub_f32 v72, v13, v15 :: v_dual_mul_f32 v67, 0xbf29c268, v69
	v_dual_add_f32 v28, v29, v28 :: v_dual_add_f32 v29, v43, v41
	v_dual_mul_f32 v56, 0x3f7e222b, v73 :: v_dual_add_f32 v43, v10, v16
	v_mul_f32_e32 v58, 0x3f52af12, v77
	v_mul_f32_e32 v70, 0xbf52af12, v65
	s_delay_alu instid0(VALU_DEP_4) | instskip(SKIP_1) | instid1(VALU_DEP_4)
	v_add_f32_e32 v29, v44, v29
	v_dual_add_f32 v44, v8, v18 :: v_dual_add_f32 v3, v1, v3
	v_fma_f32 v45, 0x3f116cb1, v43, -v58
	s_delay_alu instid0(VALU_DEP_4)
	v_fmamk_f32 v79, v36, 0x3f116cb1, v70
	v_mul_f32_e32 v88, 0xbf7e222b, v74
	v_mul_f32_e32 v92, 0x3eedf032, v77
	;; [unrolled: 1-line block ×3, first 2 shown]
	v_dual_add_f32 v48, v45, v29 :: v_dual_add_f32 v45, v14, v12
	v_dual_add_f32 v41, v15, v13 :: v_dual_mul_f32 v60, 0xbf6f5d39, v78
	v_mul_f32_e32 v53, 0xbf29c268, v74
	v_mul_f32_e32 v98, 0xbf52af12, v74
	v_dual_mul_f32 v99, 0xbf6f5d39, v66 :: v_dual_mul_f32 v100, 0xbf6f5d39, v75
	s_delay_alu instid0(VALU_DEP_4) | instskip(SKIP_2) | instid1(VALU_DEP_3)
	v_fmamk_f32 v46, v41, 0x3df6dbef, v56
	v_fma_f32 v49, 0xbeb58ec6, v44, -v60
	v_dual_mul_f32 v101, 0xbe750f2a, v65 :: v_dual_mul_f32 v102, 0xbe750f2a, v76
	v_dual_mul_f32 v96, 0xbf52af12, v69 :: v_dual_add_f32 v29, v46, v28
	v_fmamk_f32 v28, v38, 0xbf3f9e67, v67
	v_mul_f32_e32 v68, 0x3f7e222b, v66
	v_dual_add_f32 v46, v49, v48 :: v_dual_mul_f32 v103, 0x3f29c268, v63
	s_delay_alu instid0(VALU_DEP_3) | instskip(NEXT) | instid1(VALU_DEP_3)
	v_dual_mul_f32 v104, 0x3f29c268, v77 :: v_dual_add_f32 v49, v1, v28
	v_fmamk_f32 v59, v37, 0x3df6dbef, v68
	v_dual_mul_f32 v54, 0x3f7e222b, v72 :: v_dual_add_f32 v3, v3, v21
	v_dual_mul_f32 v105, 0x3f7e222b, v64 :: v_dual_mul_f32 v106, 0x3f7e222b, v78
	s_delay_alu instid0(VALU_DEP_3) | instskip(NEXT) | instid1(VALU_DEP_3)
	v_add_f32_e32 v59, v59, v49
	v_fma_f32 v48, 0x3df6dbef, v45, -v54
	v_mul_f32_e32 v49, 0xbf52af12, v76
	v_dual_mul_f32 v107, 0x3eedf032, v73 :: v_dual_mul_f32 v108, 0x3eedf032, v72
	v_fma_f32 v51, 0x3f62ad3f, v37, -v51
	s_delay_alu instid0(VALU_DEP_4)
	v_add_f32_e32 v28, v48, v46
	v_fma_f32 v46, 0xbf3f9e67, v39, -v53
	v_mul_f32_e32 v48, 0x3f7e222b, v75
	v_mul_f32_e32 v71, 0x3e750f2a, v63
	v_fma_f32 v82, 0x3f116cb1, v42, -v49
	v_add_f32_e32 v2, v0, v2
	v_add_f32_e32 v46, v0, v46
	v_fma_f32 v80, 0x3df6dbef, v40, -v48
	v_fmamk_f32 v81, v34, 0xbf788fa5, v71
	s_delay_alu instid0(VALU_DEP_4) | instskip(NEXT) | instid1(VALU_DEP_3)
	v_dual_fmac_f32 v49, 0x3f116cb1, v42 :: v_dual_add_f32 v2, v2, v20
	v_dual_add_f32 v3, v3, v23 :: v_dual_add_f32 v80, v80, v46
	v_mul_f32_e32 v87, 0xbf7e222b, v77
	s_delay_alu instid0(VALU_DEP_3) | instskip(NEXT) | instid1(VALU_DEP_3)
	v_dual_mul_f32 v89, 0x3f6f5d39, v65 :: v_dual_add_f32 v2, v2, v22
	v_dual_add_f32 v3, v3, v17 :: v_dual_add_f32 v80, v82, v80
	v_add_f32_e32 v79, v79, v59
	v_mul_f32_e32 v59, 0x3eedf032, v64
	v_mul_f32_e32 v46, 0x3e750f2a, v77
	v_dual_mul_f32 v21, 0x3eedf032, v78 :: v_dual_add_f32 v2, v2, v16
	s_delay_alu instid0(VALU_DEP_4) | instskip(SKIP_1) | instid1(VALU_DEP_4)
	v_add_f32_e32 v79, v81, v79
	v_mul_f32_e32 v81, 0xbf6f5d39, v69
	v_fma_f32 v20, 0xbf788fa5, v43, -v46
	v_fmamk_f32 v83, v35, 0x3f62ad3f, v59
	v_dual_add_f32 v3, v3, v19 :: v_dual_add_f32 v2, v2, v18
	v_mul_f32_e32 v18, 0xbf6f5d39, v74
	v_fmamk_f32 v82, v38, 0xbeb58ec6, v81
	v_add_f32_e32 v20, v20, v80
	v_dual_mul_f32 v22, 0x3f29c268, v66 :: v_dual_add_f32 v79, v83, v79
	s_delay_alu instid0(VALU_DEP_3) | instskip(SKIP_1) | instid1(VALU_DEP_3)
	v_dual_mul_f32 v23, 0xbf6f5d39, v73 :: v_dual_add_f32 v82, v1, v82
	v_fma_f32 v80, 0x3f62ad3f, v44, -v21
	v_fmamk_f32 v84, v37, 0xbf3f9e67, v22
	v_mul_f32_e32 v85, 0x3eedf032, v65
	v_add_f32_e32 v3, v3, v13
	s_delay_alu instid0(VALU_DEP_4) | instskip(NEXT) | instid1(VALU_DEP_4)
	v_dual_fmamk_f32 v19, v41, 0xbeb58ec6, v23 :: v_dual_add_f32 v20, v80, v20
	v_add_f32_e32 v16, v84, v82
	s_delay_alu instid0(VALU_DEP_4) | instskip(SKIP_3) | instid1(VALU_DEP_3)
	v_fmamk_f32 v17, v36, 0x3f62ad3f, v85
	v_mul_f32_e32 v82, 0xbf7e222b, v63
	v_fma_f32 v80, 0xbeb58ec6, v39, -v18
	v_dual_add_f32 v2, v2, v12 :: v_dual_mul_f32 v83, 0x3f29c268, v75
	v_dual_add_f32 v16, v17, v16 :: v_dual_fmamk_f32 v17, v34, 0x3df6dbef, v82
	v_dual_mul_f32 v84, 0xbf6f5d39, v72 :: v_dual_add_f32 v13, v3, v15
	s_delay_alu instid0(VALU_DEP_4) | instskip(NEXT) | instid1(VALU_DEP_3)
	v_add_f32_e32 v12, v0, v80
	v_dual_add_f32 v14, v2, v14 :: v_dual_add_f32 v15, v17, v16
	v_fma_f32 v2, 0xbf3f9e67, v40, -v83
	s_delay_alu instid0(VALU_DEP_4) | instskip(SKIP_2) | instid1(VALU_DEP_4)
	v_dual_mul_f32 v86, 0x3e750f2a, v64 :: v_dual_add_f32 v9, v13, v9
	v_fma_f32 v16, 0xbeb58ec6, v45, -v84
	v_dual_mul_f32 v80, 0x3eedf032, v76 :: v_dual_add_f32 v3, v19, v79
	v_dual_add_f32 v12, v2, v12 :: v_dual_mul_f32 v19, 0x3f52af12, v73
	s_delay_alu instid0(VALU_DEP_3) | instskip(SKIP_1) | instid1(VALU_DEP_4)
	v_dual_add_f32 v2, v16, v20 :: v_dual_add_f32 v9, v9, v11
	v_dual_add_f32 v8, v14, v8 :: v_dual_mul_f32 v79, 0xbe750f2a, v66
	v_fma_f32 v17, 0x3f62ad3f, v42, -v80
	s_delay_alu instid0(VALU_DEP_3) | instskip(NEXT) | instid1(VALU_DEP_3)
	v_dual_fmamk_f32 v16, v35, 0xbf788fa5, v86 :: v_dual_add_f32 v5, v9, v5
	v_dual_add_f32 v8, v8, v10 :: v_dual_fmamk_f32 v11, v41, 0x3f116cb1, v19
	s_delay_alu instid0(VALU_DEP_2) | instskip(NEXT) | instid1(VALU_DEP_3)
	v_dual_add_f32 v12, v17, v12 :: v_dual_add_f32 v13, v16, v15
	v_dual_mul_f32 v16, 0xbf7e222b, v69 :: v_dual_add_f32 v5, v5, v7
	s_delay_alu instid0(VALU_DEP_3) | instskip(SKIP_2) | instid1(VALU_DEP_4)
	v_add_f32_e32 v4, v8, v4
	v_fma_f32 v17, 0x3df6dbef, v43, -v87
	v_fma_f32 v7, 0x3df6dbef, v39, -v88
	v_fmamk_f32 v10, v38, 0x3df6dbef, v16
	v_dual_mul_f32 v20, 0x3e750f2a, v78 :: v_dual_add_f32 v5, v5, v31
	v_dual_add_f32 v4, v4, v6 :: v_dual_mul_f32 v31, 0x3f52af12, v72
	v_add_f32_e32 v12, v17, v12
	v_dual_fmamk_f32 v6, v37, 0xbf788fa5, v79 :: v_dual_add_f32 v7, v0, v7
	v_add_f32_e32 v9, v1, v10
	s_delay_alu instid0(VALU_DEP_4) | instskip(SKIP_2) | instid1(VALU_DEP_4)
	v_dual_add_f32 v4, v4, v30 :: v_dual_mul_f32 v91, 0x3eedf032, v63
	v_fma_f32 v14, 0x3f62ad3f, v43, -v92
	v_mul_f32_e32 v30, 0xbe750f2a, v75
	v_dual_add_f32 v6, v6, v9 :: v_dual_fmamk_f32 v9, v36, 0xbeb58ec6, v89
	v_fma_f32 v8, 0xbf788fa5, v44, -v20
	v_mul_f32_e32 v93, 0xbf52af12, v64
	s_delay_alu instid0(VALU_DEP_4) | instskip(NEXT) | instid1(VALU_DEP_4)
	v_fma_f32 v10, 0xbf788fa5, v40, -v30
	v_dual_mul_f32 v95, 0xbf29c268, v73 :: v_dual_add_f32 v6, v9, v6
	v_fma_f32 v9, 0xbeb58ec6, v42, -v90
	s_delay_alu instid0(VALU_DEP_4) | instskip(NEXT) | instid1(VALU_DEP_4)
	v_fmamk_f32 v15, v35, 0x3f116cb1, v93
	v_dual_add_f32 v7, v10, v7 :: v_dual_add_f32 v8, v8, v12
	v_fma_f32 v10, 0x3f116cb1, v45, -v31
	v_mul_f32_e32 v97, 0xbf29c268, v72
	v_dual_mul_f32 v69, 0xbeedf032, v69 :: v_dual_mul_f32 v74, 0xbeedf032, v74
	s_delay_alu instid0(VALU_DEP_4)
	v_add_f32_e32 v9, v9, v7
	v_add_f32_e32 v7, v11, v13
	v_fma_f32 v13, 0x3f116cb1, v39, -v98
	v_fmamk_f32 v12, v34, 0x3f62ad3f, v91
	v_dual_mul_f32 v66, 0xbf52af12, v66 :: v_dual_mul_f32 v75, 0xbf52af12, v75
	v_add_f32_e32 v9, v14, v9
	s_delay_alu instid0(VALU_DEP_4) | instskip(NEXT) | instid1(VALU_DEP_4)
	v_add_f32_e32 v13, v0, v13
	v_add_f32_e32 v12, v12, v6
	v_dual_add_f32 v6, v10, v8 :: v_dual_mul_f32 v65, 0xbf7e222b, v65
	v_mul_f32_e32 v76, 0xbf7e222b, v76
	v_fma_f32 v109, 0x3f116cb1, v40, -v75
	s_delay_alu instid0(VALU_DEP_4)
	v_add_f32_e32 v8, v15, v12
	v_fma_f32 v15, 0xbeb58ec6, v40, -v100
	v_mul_f32_e32 v94, 0xbf52af12, v78
	v_fma_f32 v12, 0xbf3f9e67, v45, -v97
	v_mul_f32_e32 v78, 0xbf29c268, v78
	v_mul_f32_e32 v63, 0xbf6f5d39, v63
	v_add_f32_e32 v13, v15, v13
	v_fma_f32 v11, 0x3f116cb1, v44, -v94
	v_fma_f32 v15, 0xbf788fa5, v42, -v102
	v_fmac_f32_e32 v60, 0xbeb58ec6, v44
	v_fma_f32 v22, 0xbf3f9e67, v37, -v22
	v_fmac_f32_e32 v18, 0xbeb58ec6, v39
	v_dual_add_f32 v10, v11, v9 :: v_dual_fmamk_f32 v9, v41, 0xbf3f9e67, v95
	v_fmamk_f32 v11, v38, 0x3f116cb1, v96
	v_add_f32_e32 v13, v15, v13
	v_fma_f32 v15, 0xbf3f9e67, v43, -v104
	v_fmamk_f32 v14, v37, 0xbeb58ec6, v99
	v_dual_add_f32 v9, v9, v8 :: v_dual_add_f32 v8, v12, v10
	v_add_f32_e32 v11, v1, v11
	s_delay_alu instid0(VALU_DEP_4)
	v_add_f32_e32 v13, v15, v13
	v_fma_f32 v15, 0x3df6dbef, v44, -v106
	v_mul_f32_e32 v64, 0xbf29c268, v64
	v_fmac_f32_e32 v62, 0xbf788fa5, v39
	v_add_f32_e32 v11, v14, v11
	v_mul_f32_e32 v77, 0xbf6f5d39, v77
	v_dual_add_f32 v12, v15, v13 :: v_dual_fmamk_f32 v13, v38, 0x3f62ad3f, v69
	v_fmamk_f32 v14, v36, 0xbf788fa5, v101
	v_fma_f32 v15, 0x3f62ad3f, v39, -v74
	v_add_f32_e32 v62, v0, v62
	v_fmac_f32_e32 v54, 0x3df6dbef, v45
	v_add_f32_e32 v13, v1, v13
	v_add_f32_e32 v11, v14, v11
	v_dual_fmamk_f32 v14, v34, 0xbf3f9e67, v103 :: v_dual_add_f32 v15, v0, v15
	v_mul_f32_e32 v73, 0xbe750f2a, v73
	v_fmac_f32_e32 v58, 0x3f116cb1, v43
	s_delay_alu instid0(VALU_DEP_3) | instskip(NEXT) | instid1(VALU_DEP_4)
	v_dual_add_f32 v18, v0, v18 :: v_dual_add_f32 v11, v14, v11
	v_dual_fmamk_f32 v14, v35, 0x3df6dbef, v105 :: v_dual_add_f32 v15, v109, v15
	v_fma_f32 v109, 0x3df6dbef, v42, -v76
	v_fmac_f32_e32 v83, 0xbf3f9e67, v40
	v_fmac_f32_e32 v87, 0x3df6dbef, v43
	s_delay_alu instid0(VALU_DEP_4) | instskip(SKIP_4) | instid1(VALU_DEP_4)
	v_dual_add_f32 v10, v14, v11 :: v_dual_fmamk_f32 v11, v41, 0x3f62ad3f, v107
	v_fma_f32 v14, 0x3f62ad3f, v45, -v108
	v_fmamk_f32 v17, v37, 0x3f116cb1, v66
	v_add_f32_e32 v15, v109, v15
	v_fma_f32 v109, 0xbeb58ec6, v43, -v77
	v_dual_add_f32 v11, v11, v10 :: v_dual_add_f32 v10, v14, v12
	s_delay_alu instid0(VALU_DEP_4) | instskip(SKIP_1) | instid1(VALU_DEP_4)
	v_add_f32_e32 v13, v17, v13
	v_fmamk_f32 v17, v36, 0x3df6dbef, v65
	v_add_f32_e32 v15, v109, v15
	v_fma_f32 v109, 0xbf3f9e67, v44, -v78
	v_fmac_f32_e32 v48, 0x3df6dbef, v40
	s_delay_alu instid0(VALU_DEP_4) | instskip(SKIP_1) | instid1(VALU_DEP_4)
	v_dual_add_f32 v18, v83, v18 :: v_dual_add_f32 v13, v17, v13
	v_fmac_f32_e32 v46, 0xbf788fa5, v43
	v_dual_add_f32 v14, v109, v15 :: v_dual_fmamk_f32 v17, v34, 0xbeb58ec6, v63
	v_fmamk_f32 v15, v41, 0xbf788fa5, v73
	v_fma_f32 v19, 0x3f116cb1, v41, -v19
	v_fmac_f32_e32 v84, 0xbeb58ec6, v45
	v_fmac_f32_e32 v57, 0xbf3f9e67, v42
	v_add_f32_e32 v13, v17, v13
	v_fmamk_f32 v17, v35, 0xbf3f9e67, v64
	v_fmac_f32_e32 v80, 0x3f62ad3f, v42
	v_fmac_f32_e32 v20, 0xbf788fa5, v44
	;; [unrolled: 1-line block ×4, first 2 shown]
	v_add_f32_e32 v12, v17, v13
	v_fma_f32 v13, 0xbf788fa5, v38, -v55
	v_dual_mul_f32 v55, 0xbe750f2a, v72 :: v_dual_add_f32 v18, v80, v18
	v_fmac_f32_e32 v90, 0xbeb58ec6, v42
	s_delay_alu instid0(VALU_DEP_3) | instskip(SKIP_1) | instid1(VALU_DEP_4)
	v_dual_fmac_f32 v92, 0x3f62ad3f, v43 :: v_dual_add_f32 v17, v1, v13
	v_add_f32_e32 v13, v15, v12
	v_fma_f32 v12, 0xbf788fa5, v45, -v55
	v_dual_add_f32 v18, v87, v18 :: v_dual_fmac_f32 v53, 0xbf3f9e67, v39
	s_delay_alu instid0(VALU_DEP_4) | instskip(SKIP_1) | instid1(VALU_DEP_4)
	v_add_f32_e32 v15, v51, v17
	v_fma_f32 v17, 0xbf3f9e67, v36, -v52
	v_add_f32_e32 v12, v12, v14
	v_fma_f32 v14, 0xbf3f9e67, v38, -v67
	v_add_f32_e32 v18, v20, v18
	s_delay_alu instid0(VALU_DEP_4) | instskip(SKIP_1) | instid1(VALU_DEP_4)
	v_dual_fmac_f32 v94, 0x3f116cb1, v44 :: v_dual_add_f32 v15, v17, v15
	v_fma_f32 v17, 0x3f116cb1, v34, -v47
	v_dual_add_f32 v14, v1, v14 :: v_dual_fmac_f32 v97, 0xbf3f9e67, v45
	v_dual_fmac_f32 v98, 0x3f116cb1, v39 :: v_dual_fmac_f32 v75, 0x3f116cb1, v40
	s_delay_alu instid0(VALU_DEP_3) | instskip(SKIP_4) | instid1(VALU_DEP_4)
	v_add_f32_e32 v15, v17, v15
	v_fma_f32 v17, 0xbeb58ec6, v35, -v50
	v_fma_f32 v50, 0x3f116cb1, v36, -v70
	v_fmac_f32_e32 v102, 0xbf788fa5, v42
	v_fmac_f32_e32 v77, 0xbeb58ec6, v43
	v_dual_fmac_f32 v106, 0x3df6dbef, v44 :: v_dual_add_f32 v15, v17, v15
	v_fma_f32 v17, 0x3df6dbef, v41, -v56
	s_delay_alu instid0(VALU_DEP_1) | instskip(SKIP_1) | instid1(VALU_DEP_1)
	v_add_f32_e32 v15, v17, v15
	v_fma_f32 v17, 0xbeb58ec6, v38, -v81
	v_add_f32_e32 v17, v1, v17
	s_delay_alu instid0(VALU_DEP_1) | instskip(SKIP_1) | instid1(VALU_DEP_1)
	v_add_f32_e32 v17, v22, v17
	v_fma_f32 v22, 0x3f62ad3f, v36, -v85
	v_dual_fmac_f32 v61, 0x3f62ad3f, v40 :: v_dual_add_f32 v22, v22, v17
	s_delay_alu instid0(VALU_DEP_1) | instskip(SKIP_2) | instid1(VALU_DEP_3)
	v_add_f32_e32 v51, v61, v62
	v_fma_f32 v17, 0xbeb58ec6, v41, -v23
	v_fma_f32 v23, 0x3df6dbef, v34, -v82
	v_add_f32_e32 v47, v57, v51
	v_fma_f32 v51, 0x3df6dbef, v37, -v68
	s_delay_alu instid0(VALU_DEP_3) | instskip(SKIP_1) | instid1(VALU_DEP_3)
	v_add_f32_e32 v22, v23, v22
	v_fma_f32 v23, 0xbf788fa5, v35, -v86
	v_dual_add_f32 v47, v58, v47 :: v_dual_add_f32 v14, v51, v14
	v_fma_f32 v51, 0xbf788fa5, v34, -v71
	s_delay_alu instid0(VALU_DEP_3) | instskip(SKIP_1) | instid1(VALU_DEP_4)
	v_add_f32_e32 v22, v23, v22
	v_fma_f32 v23, 0x3df6dbef, v38, -v16
	v_dual_add_f32 v47, v60, v47 :: v_dual_add_f32 v50, v50, v14
	s_delay_alu instid0(VALU_DEP_2) | instskip(NEXT) | instid1(VALU_DEP_2)
	v_dual_add_f32 v19, v19, v22 :: v_dual_add_f32 v20, v1, v23
	v_dual_add_f32 v14, v54, v47 :: v_dual_add_f32 v47, v51, v50
	v_add_f32_e32 v51, v0, v53
	v_fma_f32 v50, 0x3f62ad3f, v35, -v59
	v_add_f32_e32 v22, v0, v88
	v_fma_f32 v23, 0x3f116cb1, v38, -v96
	s_delay_alu instid0(VALU_DEP_4) | instskip(NEXT) | instid1(VALU_DEP_4)
	v_add_f32_e32 v48, v48, v51
	v_add_f32_e32 v47, v50, v47
	s_delay_alu instid0(VALU_DEP_4) | instskip(SKIP_1) | instid1(VALU_DEP_4)
	v_dual_add_f32 v22, v30, v22 :: v_dual_fmac_f32 v21, 0x3f62ad3f, v44
	v_fma_f32 v30, 0xbeb58ec6, v37, -v99
	v_add_f32_e32 v48, v49, v48
	s_delay_alu instid0(VALU_DEP_3) | instskip(NEXT) | instid1(VALU_DEP_2)
	v_dual_add_f32 v17, v17, v47 :: v_dual_add_f32 v22, v90, v22
	v_dual_add_f32 v23, v1, v23 :: v_dual_add_f32 v46, v46, v48
	s_delay_alu instid0(VALU_DEP_1) | instskip(SKIP_1) | instid1(VALU_DEP_3)
	v_dual_add_f32 v22, v92, v22 :: v_dual_add_f32 v23, v30, v23
	v_fma_f32 v30, 0xbf788fa5, v36, -v101
	v_add_f32_e32 v21, v21, v46
	s_delay_alu instid0(VALU_DEP_3) | instskip(NEXT) | instid1(VALU_DEP_2)
	v_add_f32_e32 v22, v94, v22
	v_add_f32_e32 v16, v84, v21
	v_fma_f32 v21, 0xbf788fa5, v37, -v79
	s_delay_alu instid0(VALU_DEP_1) | instskip(SKIP_1) | instid1(VALU_DEP_1)
	v_add_f32_e32 v20, v21, v20
	v_fma_f32 v21, 0xbeb58ec6, v36, -v89
	v_add_f32_e32 v20, v21, v20
	v_fma_f32 v21, 0x3f62ad3f, v34, -v91
	s_delay_alu instid0(VALU_DEP_1) | instskip(SKIP_3) | instid1(VALU_DEP_4)
	v_dual_fmac_f32 v31, 0x3f116cb1, v45 :: v_dual_add_f32 v20, v21, v20
	v_fma_f32 v21, 0x3f116cb1, v35, -v93
	v_add_f32_e32 v23, v30, v23
	v_fma_f32 v30, 0xbf3f9e67, v34, -v103
	v_add_f32_e32 v18, v31, v18
	s_delay_alu instid0(VALU_DEP_4) | instskip(SKIP_1) | instid1(VALU_DEP_4)
	v_dual_add_f32 v31, v0, v98 :: v_dual_add_f32 v20, v21, v20
	v_fma_f32 v21, 0xbf3f9e67, v41, -v95
	v_add_f32_e32 v23, v30, v23
	v_fma_f32 v30, 0x3df6dbef, v35, -v105
	s_delay_alu instid0(VALU_DEP_3) | instskip(SKIP_1) | instid1(VALU_DEP_3)
	v_add_f32_e32 v21, v21, v20
	v_add_f32_e32 v20, v97, v22
	;; [unrolled: 1-line block ×3, first 2 shown]
	v_fma_f32 v23, 0x3f62ad3f, v38, -v69
	v_fmac_f32_e32 v100, 0xbeb58ec6, v40
	v_fma_f32 v30, 0x3f62ad3f, v41, -v107
	s_delay_alu instid0(VALU_DEP_3) | instskip(SKIP_3) | instid1(VALU_DEP_2)
	v_dual_fmac_f32 v78, 0xbf3f9e67, v44 :: v_dual_add_f32 v1, v1, v23
	v_fma_f32 v23, 0x3f116cb1, v37, -v66
	v_fmac_f32_e32 v74, 0x3f62ad3f, v39
	v_add_f32_e32 v31, v100, v31
	v_dual_add_f32 v1, v23, v1 :: v_dual_add_f32 v0, v0, v74
	s_delay_alu instid0(VALU_DEP_2) | instskip(SKIP_4) | instid1(VALU_DEP_4)
	v_add_f32_e32 v31, v102, v31
	v_fma_f32 v23, 0x3df6dbef, v36, -v65
	v_fmac_f32_e32 v76, 0x3df6dbef, v42
	v_mad_u32_u24 v36, 0x60, v24, v32
	v_add_f32_e32 v0, v75, v0
	v_add_f32_e32 v1, v23, v1
	v_fma_f32 v23, 0xbeb58ec6, v34, -v63
	v_fmac_f32_e32 v104, 0xbf3f9e67, v43
	v_fma_f32 v34, 0xbf788fa5, v41, -v73
	s_delay_alu instid0(VALU_DEP_3) | instskip(NEXT) | instid1(VALU_DEP_3)
	v_add_f32_e32 v1, v23, v1
	v_add_f32_e32 v31, v104, v31
	;; [unrolled: 1-line block ×3, first 2 shown]
	v_fma_f32 v23, 0xbf3f9e67, v35, -v64
	s_delay_alu instid0(VALU_DEP_2) | instskip(NEXT) | instid1(VALU_DEP_2)
	v_dual_add_f32 v31, v106, v31 :: v_dual_add_f32 v0, v77, v0
	v_add_f32_e32 v23, v23, v1
	v_dual_add_f32 v1, v30, v22 :: v_dual_fmac_f32 v108, 0x3f62ad3f, v45
	v_fmac_f32_e32 v55, 0xbf788fa5, v45
	s_delay_alu instid0(VALU_DEP_4) | instskip(NEXT) | instid1(VALU_DEP_4)
	v_add_f32_e32 v35, v78, v0
	v_add_f32_e32 v23, v34, v23
	s_delay_alu instid0(VALU_DEP_4) | instskip(NEXT) | instid1(VALU_DEP_3)
	v_add_f32_e32 v0, v108, v31
	v_add_f32_e32 v22, v55, v35
	ds_store_2addr_b64 v36, v[4:5], v[12:13] offset1:1
	ds_store_2addr_b64 v36, v[10:11], v[8:9] offset0:2 offset1:3
	ds_store_2addr_b64 v36, v[6:7], v[2:3] offset0:4 offset1:5
	;; [unrolled: 1-line block ×5, first 2 shown]
	ds_store_b64 v36, v[22:23] offset:96
.LBB0_13:
	s_wait_alu 0xfffe
	s_or_b32 exec_lo, exec_lo, s1
	v_and_b32_e32 v8, 0xff, v24
	v_add_nc_u32_e32 v20, 0x75, v24
	global_wb scope:SCOPE_SE
	s_wait_dscnt 0x0
	s_barrier_signal -1
	s_barrier_wait -1
	v_mul_lo_u16 v0, 0x4f, v8
	v_and_b32_e32 v1, 0xff, v20
	global_inv scope:SCOPE_SE
	v_mul_lo_u16 v8, 0xa5, v8
	s_mov_b32 s1, exec_lo
	v_lshrrev_b16 v9, 10, v0
	v_mul_lo_u16 v0, 0x4f, v1
	s_delay_alu instid0(VALU_DEP_3) | instskip(NEXT) | instid1(VALU_DEP_3)
	v_lshrrev_b16 v8, 8, v8
	v_mul_lo_u16 v1, v9, 13
	s_delay_alu instid0(VALU_DEP_3) | instskip(SKIP_1) | instid1(VALU_DEP_4)
	v_lshrrev_b16 v16, 10, v0
	v_and_b32_e32 v19, 0xffff, v9
	v_sub_nc_u16 v10, v24, v8
	s_delay_alu instid0(VALU_DEP_4) | instskip(NEXT) | instid1(VALU_DEP_4)
	v_sub_nc_u16 v0, v24, v1
	v_mul_lo_u16 v1, v16, 13
	s_delay_alu instid0(VALU_DEP_4) | instskip(NEXT) | instid1(VALU_DEP_4)
	v_mul_u32_u24_e32 v22, 0x138, v19
	v_lshrrev_b16 v10, 1, v10
	s_delay_alu instid0(VALU_DEP_4) | instskip(NEXT) | instid1(VALU_DEP_4)
	v_and_b32_e32 v17, 0xff, v0
	v_sub_nc_u16 v0, v20, v1
	s_delay_alu instid0(VALU_DEP_2) | instskip(NEXT) | instid1(VALU_DEP_2)
	v_lshlrev_b32_e32 v1, 4, v17
	v_and_b32_e32 v21, 0xff, v0
	global_load_b128 v[0:3], v1, s[4:5]
	v_lshlrev_b32_e32 v4, 4, v21
	v_lshlrev_b32_e32 v21, 3, v21
	global_load_b128 v[4:7], v4, s[4:5]
	v_and_b32_e32 v10, 0x7f, v10
	s_delay_alu instid0(VALU_DEP_1) | instskip(NEXT) | instid1(VALU_DEP_1)
	v_add_nc_u16 v8, v10, v8
	v_lshrrev_b16 v18, 5, v8
	ds_load_2addr_b64 v[8:11], v32 offset0:117 offset1:234
	ds_load_2addr_b64 v[12:15], v33 offset0:95 offset1:212
	v_and_b32_e32 v23, 0xffff, v16
	v_lshlrev_b32_e32 v28, 3, v17
	s_delay_alu instid0(VALU_DEP_2) | instskip(NEXT) | instid1(VALU_DEP_1)
	v_mul_u32_u24_e32 v23, 0x138, v23
	v_add3_u32 v21, 0, v23, v21
	s_wait_loadcnt_dscnt 0x101
	v_mul_f32_e32 v23, v1, v11
	v_mul_f32_e32 v1, v1, v10
	s_delay_alu instid0(VALU_DEP_2)
	v_fma_f32 v10, v0, v10, -v23
	v_and_b32_e32 v33, 7, v18
	ds_load_2addr_b32 v[16:17], v32 offset1:1
	ds_load_b64 v[18:19], v32 offset:4680
	v_fmac_f32_e32 v1, v0, v11
	s_wait_loadcnt_dscnt 0x2
	v_mul_f32_e32 v11, v5, v13
	v_mul_f32_e32 v5, v5, v12
	v_mul_lo_u16 v29, v33, 39
	v_add3_u32 v22, 0, v22, v28
	global_wb scope:SCOPE_SE
	s_wait_dscnt 0x0
	s_barrier_signal -1
	v_fmac_f32_e32 v5, v4, v13
	v_sub_nc_u16 v28, v24, v29
	s_barrier_wait -1
	global_inv scope:SCOPE_SE
	v_and_b32_e32 v34, 0xff, v28
	v_mul_f32_e32 v28, v3, v15
	v_mul_f32_e32 v3, v3, v14
	s_delay_alu instid0(VALU_DEP_2) | instskip(SKIP_2) | instid1(VALU_DEP_4)
	v_fma_f32 v0, v2, v14, -v28
	v_mul_f32_e32 v14, v7, v19
	v_mul_f32_e32 v7, v7, v18
	v_fmac_f32_e32 v3, v2, v15
	v_fma_f32 v2, v4, v12, -v11
	v_add_f32_e32 v11, v10, v0
	v_fma_f32 v4, v6, v18, -v14
	v_fmac_f32_e32 v7, v6, v19
	v_add_f32_e32 v6, v10, v16
	v_add_f32_e32 v14, v1, v3
	v_sub_f32_e32 v10, v10, v0
	v_fma_f32 v16, -0.5, v11, v16
	v_add_f32_e32 v11, v2, v4
	v_add_f32_e32 v0, v6, v0
	v_dual_add_f32 v6, v8, v2 :: v_dual_add_f32 v13, v17, v1
	v_dual_fmac_f32 v17, -0.5, v14 :: v_dual_add_f32 v14, v9, v5
	v_sub_f32_e32 v12, v1, v3
	v_mul_u32_u24_e32 v29, 5, v34
	v_sub_f32_e32 v15, v2, v4
	v_fma_f32 v8, -0.5, v11, v8
	v_dual_add_f32 v4, v6, v4 :: v_dual_add_f32 v1, v13, v3
	v_fmamk_f32 v2, v12, 0x3f5db3d7, v16
	v_dual_fmac_f32 v16, 0xbf5db3d7, v12 :: v_dual_sub_f32 v13, v5, v7
	v_fmamk_f32 v3, v10, 0xbf5db3d7, v17
	v_dual_fmac_f32 v17, 0x3f5db3d7, v10 :: v_dual_lshlrev_b32 v10, 3, v29
	s_delay_alu instid0(VALU_DEP_3) | instskip(SKIP_1) | instid1(VALU_DEP_1)
	v_fmamk_f32 v6, v13, 0x3f5db3d7, v8
	v_dual_add_f32 v5, v5, v7 :: v_dual_fmac_f32 v8, 0xbf5db3d7, v13
	v_fmac_f32_e32 v9, -0.5, v5
	v_add_f32_e32 v5, v14, v7
	s_delay_alu instid0(VALU_DEP_2)
	v_fmamk_f32 v7, v15, 0xbf5db3d7, v9
	v_fmac_f32_e32 v9, 0x3f5db3d7, v15
	ds_store_2addr_b64 v22, v[0:1], v[2:3] offset1:13
	ds_store_b64 v22, v[16:17] offset:208
	ds_store_2addr_b64 v21, v[4:5], v[6:7] offset1:13
	ds_store_b64 v21, v[8:9] offset:208
	global_wb scope:SCOPE_SE
	s_wait_dscnt 0x0
	s_barrier_signal -1
	s_barrier_wait -1
	global_inv scope:SCOPE_SE
	s_clause 0x2
	global_load_b128 v[2:5], v10, s[4:5] offset:208
	global_load_b128 v[6:9], v10, s[4:5] offset:224
	global_load_b64 v[22:23], v10, s[4:5] offset:240
	ds_load_2addr_b64 v[14:17], v25 offset0:106 offset1:223
	v_dual_mov_b32 v1, 0 :: v_dual_lshlrev_b32 v0, 1, v24
	ds_load_2addr_b64 v[10:13], v32 offset1:117
	v_lshlrev_b64_e32 v[28:29], 3, v[0:1]
	v_lshlrev_b32_e32 v0, 1, v20
	s_delay_alu instid0(VALU_DEP_1) | instskip(SKIP_1) | instid1(VALU_DEP_4)
	v_lshlrev_b64_e32 v[30:31], 3, v[0:1]
	v_and_b32_e32 v0, 0xffff, v33
	v_add_co_u32 v28, s0, s4, v28
	s_wait_alu 0xf1ff
	v_add_co_ci_u32_e64 v29, s0, s5, v29, s0
	s_delay_alu instid0(VALU_DEP_3)
	v_mul_u32_u24_e32 v0, 0x750, v0
	v_add_co_u32 v30, s0, s4, v30
	s_wait_alu 0xf1ff
	v_add_co_ci_u32_e64 v31, s0, s5, v31, s0
	s_wait_loadcnt_dscnt 0x101
	v_mul_f32_e32 v36, v7, v17
	v_mul_f32_e32 v7, v7, v16
	s_delay_alu instid0(VALU_DEP_1)
	v_fmac_f32_e32 v7, v6, v17
	v_add_nc_u32_e32 v35, 0xc00, v32
	ds_load_2addr_b64 v[18:21], v35 offset0:84 offset1:201
	global_wb scope:SCOPE_SE
	s_wait_loadcnt_dscnt 0x0
	s_barrier_signal -1
	s_barrier_wait -1
	global_inv scope:SCOPE_SE
	v_mul_f32_e32 v37, v9, v19
	v_dual_mul_f32 v9, v9, v18 :: v_dual_mul_f32 v38, v23, v21
	v_mul_f32_e32 v23, v23, v20
	s_delay_alu instid0(VALU_DEP_2) | instskip(SKIP_1) | instid1(VALU_DEP_3)
	v_fmac_f32_e32 v9, v8, v19
	v_dual_mul_f32 v34, v3, v12 :: v_dual_lshlrev_b32 v33, 3, v34
	v_fmac_f32_e32 v23, v22, v21
	s_delay_alu instid0(VALU_DEP_2) | instskip(NEXT) | instid1(VALU_DEP_3)
	v_add3_u32 v0, 0, v0, v33
	v_fmac_f32_e32 v34, v2, v13
	v_mul_f32_e32 v33, v3, v13
	s_delay_alu instid0(VALU_DEP_2) | instskip(NEXT) | instid1(VALU_DEP_2)
	v_add_f32_e32 v19, v34, v7
	v_fma_f32 v12, v2, v12, -v33
	v_mul_f32_e32 v3, v5, v15
	v_mul_f32_e32 v5, v5, v14
	s_delay_alu instid0(VALU_DEP_2) | instskip(SKIP_2) | instid1(VALU_DEP_4)
	v_fma_f32 v2, v4, v14, -v3
	v_fma_f32 v3, v6, v16, -v36
	;; [unrolled: 1-line block ×3, first 2 shown]
	v_fmac_f32_e32 v5, v4, v15
	v_fma_f32 v4, v8, v18, -v37
	v_sub_f32_e32 v18, v7, v23
	v_add_f32_e32 v7, v7, v23
	v_add_f32_e32 v17, v3, v6
	v_dual_add_f32 v8, v10, v2 :: v_dual_add_f32 v15, v11, v5
	v_dual_add_f32 v16, v12, v3 :: v_dual_sub_f32 v3, v3, v6
	s_delay_alu instid0(VALU_DEP_3)
	v_fmac_f32_e32 v12, -0.5, v17
	v_dual_fmac_f32 v34, -0.5, v7 :: v_dual_add_f32 v13, v2, v4
	v_sub_f32_e32 v14, v5, v9
	v_sub_f32_e32 v2, v2, v4
	v_add_f32_e32 v4, v8, v4
	v_dual_add_f32 v8, v15, v9 :: v_dual_fmamk_f32 v7, v18, 0x3f5db3d7, v12
	v_dual_fmac_f32 v12, 0xbf5db3d7, v18 :: v_dual_add_f32 v5, v5, v9
	v_fmamk_f32 v9, v3, 0xbf5db3d7, v34
	v_fmac_f32_e32 v34, 0x3f5db3d7, v3
	s_delay_alu instid0(VALU_DEP_1) | instskip(NEXT) | instid1(VALU_DEP_1)
	v_dual_mul_f32 v17, 0xbf5db3d7, v7 :: v_dual_mul_f32 v18, -0.5, v34
	v_fmac_f32_e32 v18, 0xbf5db3d7, v12
	v_fma_f32 v15, -0.5, v5, v11
	v_dual_add_f32 v5, v16, v6 :: v_dual_mul_f32 v16, -0.5, v12
	s_delay_alu instid0(VALU_DEP_2) | instskip(NEXT) | instid1(VALU_DEP_2)
	v_fmamk_f32 v11, v2, 0xbf5db3d7, v15
	v_dual_fmac_f32 v15, 0x3f5db3d7, v2 :: v_dual_add_f32 v2, v4, v5
	v_sub_f32_e32 v4, v4, v5
	v_fma_f32 v13, -0.5, v13, v10
	v_fmac_f32_e32 v16, 0x3f5db3d7, v34
	s_delay_alu instid0(VALU_DEP_2) | instskip(SKIP_2) | instid1(VALU_DEP_2)
	v_fmamk_f32 v10, v14, 0x3f5db3d7, v13
	v_fmac_f32_e32 v13, 0xbf5db3d7, v14
	v_mul_f32_e32 v14, 0x3f5db3d7, v9
	v_sub_f32_e32 v12, v13, v16
	s_delay_alu instid0(VALU_DEP_2) | instskip(SKIP_1) | instid1(VALU_DEP_1)
	v_fmac_f32_e32 v14, 0.5, v7
	v_add_f32_e32 v6, v19, v23
	v_add_f32_e32 v3, v8, v6
	v_sub_f32_e32 v5, v8, v6
	s_delay_alu instid0(VALU_DEP_4) | instskip(SKIP_3) | instid1(VALU_DEP_3)
	v_add_f32_e32 v6, v10, v14
	v_dual_sub_f32 v10, v10, v14 :: v_dual_fmac_f32 v17, 0.5, v9
	v_dual_add_f32 v8, v13, v16 :: v_dual_add_f32 v9, v15, v18
	v_sub_f32_e32 v13, v15, v18
	v_add_f32_e32 v7, v11, v17
	v_sub_f32_e32 v11, v11, v17
	ds_store_2addr_b64 v0, v[2:3], v[6:7] offset1:39
	ds_store_2addr_b64 v0, v[8:9], v[4:5] offset0:78 offset1:117
	ds_store_2addr_b64 v0, v[10:11], v[12:13] offset0:156 offset1:195
	global_wb scope:SCOPE_SE
	s_wait_dscnt 0x0
	s_barrier_signal -1
	s_barrier_wait -1
	global_inv scope:SCOPE_SE
	s_clause 0x1
	global_load_b128 v[2:5], v[28:29], off offset:1768
	global_load_b128 v[6:9], v[30:31], off offset:1768
	ds_load_2addr_b64 v[10:13], v25 offset0:106 offset1:223
	ds_load_2addr_b64 v[14:17], v35 offset0:84 offset1:201
	ds_load_2addr_b64 v[18:21], v32 offset1:117
	global_wb scope:SCOPE_SE
	s_wait_loadcnt_dscnt 0x0
	s_barrier_signal -1
	s_barrier_wait -1
	global_inv scope:SCOPE_SE
	v_mul_f32_e32 v0, v3, v11
	v_dual_mul_f32 v3, v3, v10 :: v_dual_mul_f32 v22, v5, v15
	v_mul_f32_e32 v5, v5, v14
	v_mul_f32_e32 v23, v7, v13
	v_dual_mul_f32 v7, v7, v12 :: v_dual_mul_f32 v28, v9, v17
	v_mul_f32_e32 v9, v9, v16
	v_fma_f32 v0, v2, v10, -v0
	v_fmac_f32_e32 v3, v2, v11
	v_fma_f32 v2, v4, v14, -v22
	v_fmac_f32_e32 v5, v4, v15
	;; [unrolled: 2-line block ×4, first 2 shown]
	v_add_f32_e32 v10, v0, v2
	v_add_f32_e32 v12, v3, v19
	;; [unrolled: 1-line block ×3, first 2 shown]
	s_delay_alu instid0(VALU_DEP_4)
	v_dual_add_f32 v15, v4, v6 :: v_dual_add_f32 v22, v7, v9
	v_add_f32_e32 v8, v0, v18
	v_dual_add_f32 v14, v20, v4 :: v_dual_add_f32 v17, v21, v7
	v_dual_sub_f32 v11, v3, v5 :: v_dual_sub_f32 v0, v0, v2
	v_dual_sub_f32 v16, v7, v9 :: v_dual_sub_f32 v23, v4, v6
	v_fma_f32 v4, -0.5, v10, v18
	v_add_f32_e32 v3, v12, v5
	v_fma_f32 v5, -0.5, v13, v19
	v_fma_f32 v20, -0.5, v15, v20
	v_fmac_f32_e32 v21, -0.5, v22
	v_add_f32_e32 v2, v8, v2
	v_dual_add_f32 v6, v14, v6 :: v_dual_add_f32 v7, v17, v9
	v_fmamk_f32 v8, v11, 0x3f5db3d7, v4
	v_dual_fmac_f32 v4, 0xbf5db3d7, v11 :: v_dual_fmamk_f32 v9, v0, 0xbf5db3d7, v5
	v_fmamk_f32 v10, v16, 0x3f5db3d7, v20
	v_fmamk_f32 v11, v23, 0xbf5db3d7, v21
	v_fmac_f32_e32 v5, 0x3f5db3d7, v0
	v_lshlrev_b32_e32 v0, 3, v24
	v_fmac_f32_e32 v20, 0xbf5db3d7, v16
	v_fmac_f32_e32 v21, 0x3f5db3d7, v23
	ds_store_2addr_b64 v32, v[2:3], v[6:7] offset1:117
	ds_store_2addr_b64 v25, v[8:9], v[10:11] offset0:106 offset1:223
	ds_store_2addr_b64 v35, v[4:5], v[20:21] offset0:84 offset1:201
	global_wb scope:SCOPE_SE
	s_wait_dscnt 0x0
	s_barrier_signal -1
	s_barrier_wait -1
	global_inv scope:SCOPE_SE
	ds_load_b64 v[4:5], v32
	v_sub_nc_u32_e32 v8, 0, v0
                                        ; implicit-def: $vgpr2
                                        ; implicit-def: $vgpr9
                                        ; implicit-def: $vgpr10
                                        ; implicit-def: $vgpr6_vgpr7
	v_cmpx_ne_u32_e32 0, v24
	s_wait_alu 0xfffe
	s_xor_b32 s1, exec_lo, s1
	s_cbranch_execz .LBB0_15
; %bb.14:
	ds_load_b64 v[2:3], v8 offset:5616
	s_wait_dscnt 0x0
	v_dual_mov_b32 v25, v1 :: v_dual_sub_f32 v6, v4, v2
	s_delay_alu instid0(VALU_DEP_1) | instskip(SKIP_2) | instid1(VALU_DEP_2)
	v_lshlrev_b64_e32 v[0:1], 3, v[24:25]
	v_dual_add_f32 v7, v3, v5 :: v_dual_add_f32 v2, v2, v4
	v_sub_f32_e32 v3, v5, v3
	v_dual_mul_f32 v5, 0.5, v6 :: v_dual_mul_f32 v6, 0.5, v7
	s_delay_alu instid0(VALU_DEP_4)
	v_add_co_u32 v0, s0, s4, v0
	s_wait_alu 0xf1ff
	v_add_co_ci_u32_e64 v1, s0, s5, v1, s0
	global_load_b64 v[0:1], v[0:1], off offset:5512
	s_wait_loadcnt 0x0
	v_dual_mul_f32 v3, 0.5, v3 :: v_dual_mul_f32 v4, v1, v5
	s_delay_alu instid0(VALU_DEP_1) | instskip(SKIP_1) | instid1(VALU_DEP_3)
	v_fma_f32 v7, v6, v1, v3
	v_fma_f32 v1, v6, v1, -v3
	v_fma_f32 v9, 0.5, v2, v4
	v_fma_f32 v2, v2, 0.5, -v4
	s_delay_alu instid0(VALU_DEP_4) | instskip(NEXT) | instid1(VALU_DEP_4)
	v_fma_f32 v10, -v0, v5, v7
	v_fma_f32 v3, -v0, v5, v1
                                        ; implicit-def: $vgpr4_vgpr5
	s_delay_alu instid0(VALU_DEP_4) | instskip(NEXT) | instid1(VALU_DEP_4)
	v_fmac_f32_e32 v9, v0, v6
	v_fma_f32 v2, -v0, v6, v2
	v_dual_mov_b32 v6, v24 :: v_dual_mov_b32 v7, v25
.LBB0_15:
	s_wait_alu 0xfffe
	s_and_not1_saveexec_b32 s0, s1
	s_cbranch_execz .LBB0_17
; %bb.16:
	s_wait_dscnt 0x0
	v_dual_mov_b32 v10, 0 :: v_dual_add_f32 v9, v4, v5
	v_dual_mov_b32 v6, 0 :: v_dual_mov_b32 v3, 0
	v_dual_sub_f32 v2, v4, v5 :: v_dual_mov_b32 v7, 0
	ds_load_b32 v0, v10 offset:2812
	s_wait_dscnt 0x0
	v_xor_b32_e32 v0, 0x80000000, v0
	ds_store_b32 v10, v0 offset:2812
.LBB0_17:
	s_wait_alu 0xfffe
	s_or_b32 exec_lo, exec_lo, s0
	v_lshlrev_b64_e32 v[0:1], 3, v[6:7]
	s_add_nc_u64 s[0:1], s[4:5], 0x1588
	s_wait_dscnt 0x0
	s_wait_alu 0xfffe
	s_delay_alu instid0(VALU_DEP_1)
	v_add_co_u32 v4, s0, s0, v0
	s_wait_alu 0xf1ff
	v_add_co_ci_u32_e64 v5, s0, s1, v1, s0
	s_clause 0x1
	global_load_b64 v[6:7], v[4:5], off offset:936
	global_load_b64 v[4:5], v[4:5], off offset:1872
	ds_store_2addr_b32 v32, v9, v10 offset1:1
	ds_store_b64 v8, v[2:3] offset:5616
	ds_load_b64 v[2:3], v32 offset:936
	ds_load_b64 v[9:10], v8 offset:4680
	s_wait_dscnt 0x0
	v_dual_sub_f32 v11, v2, v9 :: v_dual_add_f32 v12, v3, v10
	v_dual_sub_f32 v3, v3, v10 :: v_dual_add_f32 v2, v2, v9
	s_delay_alu instid0(VALU_DEP_2) | instskip(NEXT) | instid1(VALU_DEP_2)
	v_dual_mul_f32 v10, 0.5, v11 :: v_dual_mul_f32 v11, 0.5, v12
	v_mul_f32_e32 v3, 0.5, v3
	s_wait_loadcnt 0x1
	s_delay_alu instid0(VALU_DEP_2) | instskip(NEXT) | instid1(VALU_DEP_2)
	v_mul_f32_e32 v9, v7, v10
	v_fma_f32 v12, v11, v7, v3
	v_fma_f32 v3, v11, v7, -v3
	s_delay_alu instid0(VALU_DEP_3) | instskip(SKIP_1) | instid1(VALU_DEP_4)
	v_fma_f32 v7, 0.5, v2, v9
	v_fma_f32 v2, v2, 0.5, -v9
	v_fma_f32 v9, -v6, v10, v12
	s_delay_alu instid0(VALU_DEP_4) | instskip(NEXT) | instid1(VALU_DEP_4)
	v_fma_f32 v3, -v6, v10, v3
	v_fmac_f32_e32 v7, v6, v11
	s_delay_alu instid0(VALU_DEP_4)
	v_fma_f32 v2, -v6, v11, v2
	ds_store_2addr_b32 v32, v7, v9 offset0:234 offset1:235
	ds_store_b64 v8, v[2:3] offset:4680
	ds_load_b64 v[2:3], v32 offset:1872
	ds_load_b64 v[6:7], v8 offset:3744
	s_wait_dscnt 0x0
	v_dual_sub_f32 v9, v2, v6 :: v_dual_add_f32 v10, v3, v7
	v_dual_sub_f32 v3, v3, v7 :: v_dual_add_f32 v2, v2, v6
	s_delay_alu instid0(VALU_DEP_2) | instskip(NEXT) | instid1(VALU_DEP_3)
	v_mul_f32_e32 v7, 0.5, v9
	v_mul_f32_e32 v9, 0.5, v10
	s_delay_alu instid0(VALU_DEP_3) | instskip(SKIP_1) | instid1(VALU_DEP_3)
	v_mul_f32_e32 v3, 0.5, v3
	s_wait_loadcnt 0x0
	v_mul_f32_e32 v6, v5, v7
	s_delay_alu instid0(VALU_DEP_2) | instskip(SKIP_1) | instid1(VALU_DEP_3)
	v_fma_f32 v10, v9, v5, v3
	v_fma_f32 v3, v9, v5, -v3
	v_fma_f32 v11, 0.5, v2, v6
	v_fma_f32 v6, v2, 0.5, -v6
	v_add_nc_u32_e32 v2, 0x400, v32
	v_fma_f32 v10, -v4, v7, v10
	v_fma_f32 v5, -v4, v7, v3
	v_fmac_f32_e32 v11, v4, v9
	v_fma_f32 v4, -v4, v9, v6
	ds_store_2addr_b32 v2, v11, v10 offset0:212 offset1:213
	ds_store_b64 v8, v[4:5] offset:3744
	global_wb scope:SCOPE_SE
	s_wait_dscnt 0x0
	s_barrier_signal -1
	s_barrier_wait -1
	global_inv scope:SCOPE_SE
	s_and_saveexec_b32 s0, vcc_lo
	s_cbranch_execz .LBB0_20
; %bb.18:
	v_add_nc_u32_e32 v3, 0xc00, v32
	ds_load_2addr_b64 v[4:7], v32 offset1:117
	ds_load_2addr_b64 v[8:11], v2 offset0:106 offset1:223
	ds_load_2addr_b64 v[12:15], v3 offset0:84 offset1:201
	v_add_co_u32 v2, vcc_lo, s8, v26
	s_wait_alu 0xfffd
	v_add_co_ci_u32_e32 v3, vcc_lo, s9, v27, vcc_lo
	s_delay_alu instid0(VALU_DEP_2) | instskip(SKIP_1) | instid1(VALU_DEP_2)
	v_add_co_u32 v0, vcc_lo, v2, v0
	s_wait_alu 0xfffd
	v_add_co_ci_u32_e32 v1, vcc_lo, v3, v1, vcc_lo
	v_cmp_eq_u32_e32 vcc_lo, 0x74, v24
	s_wait_dscnt 0x2
	s_clause 0x1
	global_store_b64 v[0:1], v[4:5], off
	global_store_b64 v[0:1], v[6:7], off offset:936
	s_wait_dscnt 0x1
	s_clause 0x1
	global_store_b64 v[0:1], v[8:9], off offset:1872
	global_store_b64 v[0:1], v[10:11], off offset:2808
	s_wait_dscnt 0x0
	s_clause 0x1
	global_store_b64 v[0:1], v[12:13], off offset:3744
	global_store_b64 v[0:1], v[14:15], off offset:4680
	s_and_b32 exec_lo, exec_lo, vcc_lo
	s_cbranch_execz .LBB0_20
; %bb.19:
	v_mov_b32_e32 v0, 0
	ds_load_b64 v[0:1], v0 offset:5616
	s_wait_dscnt 0x0
	global_store_b64 v[2:3], v[0:1], off offset:5616
.LBB0_20:
	s_nop 0
	s_sendmsg sendmsg(MSG_DEALLOC_VGPRS)
	s_endpgm
	.section	.rodata,"a",@progbits
	.p2align	6, 0x0
	.amdhsa_kernel fft_rtc_fwd_len702_factors_13_3_6_3_wgs_117_tpt_117_halfLds_sp_ip_CI_unitstride_sbrr_R2C_dirReg
		.amdhsa_group_segment_fixed_size 0
		.amdhsa_private_segment_fixed_size 0
		.amdhsa_kernarg_size 88
		.amdhsa_user_sgpr_count 2
		.amdhsa_user_sgpr_dispatch_ptr 0
		.amdhsa_user_sgpr_queue_ptr 0
		.amdhsa_user_sgpr_kernarg_segment_ptr 1
		.amdhsa_user_sgpr_dispatch_id 0
		.amdhsa_user_sgpr_private_segment_size 0
		.amdhsa_wavefront_size32 1
		.amdhsa_uses_dynamic_stack 0
		.amdhsa_enable_private_segment 0
		.amdhsa_system_sgpr_workgroup_id_x 1
		.amdhsa_system_sgpr_workgroup_id_y 0
		.amdhsa_system_sgpr_workgroup_id_z 0
		.amdhsa_system_sgpr_workgroup_info 0
		.amdhsa_system_vgpr_workitem_id 0
		.amdhsa_next_free_vgpr 110
		.amdhsa_next_free_sgpr 32
		.amdhsa_reserve_vcc 1
		.amdhsa_float_round_mode_32 0
		.amdhsa_float_round_mode_16_64 0
		.amdhsa_float_denorm_mode_32 3
		.amdhsa_float_denorm_mode_16_64 3
		.amdhsa_fp16_overflow 0
		.amdhsa_workgroup_processor_mode 1
		.amdhsa_memory_ordered 1
		.amdhsa_forward_progress 0
		.amdhsa_round_robin_scheduling 0
		.amdhsa_exception_fp_ieee_invalid_op 0
		.amdhsa_exception_fp_denorm_src 0
		.amdhsa_exception_fp_ieee_div_zero 0
		.amdhsa_exception_fp_ieee_overflow 0
		.amdhsa_exception_fp_ieee_underflow 0
		.amdhsa_exception_fp_ieee_inexact 0
		.amdhsa_exception_int_div_zero 0
	.end_amdhsa_kernel
	.text
.Lfunc_end0:
	.size	fft_rtc_fwd_len702_factors_13_3_6_3_wgs_117_tpt_117_halfLds_sp_ip_CI_unitstride_sbrr_R2C_dirReg, .Lfunc_end0-fft_rtc_fwd_len702_factors_13_3_6_3_wgs_117_tpt_117_halfLds_sp_ip_CI_unitstride_sbrr_R2C_dirReg
                                        ; -- End function
	.section	.AMDGPU.csdata,"",@progbits
; Kernel info:
; codeLenInByte = 7456
; NumSgprs: 34
; NumVgprs: 110
; ScratchSize: 0
; MemoryBound: 0
; FloatMode: 240
; IeeeMode: 1
; LDSByteSize: 0 bytes/workgroup (compile time only)
; SGPRBlocks: 4
; VGPRBlocks: 13
; NumSGPRsForWavesPerEU: 34
; NumVGPRsForWavesPerEU: 110
; Occupancy: 12
; WaveLimiterHint : 1
; COMPUTE_PGM_RSRC2:SCRATCH_EN: 0
; COMPUTE_PGM_RSRC2:USER_SGPR: 2
; COMPUTE_PGM_RSRC2:TRAP_HANDLER: 0
; COMPUTE_PGM_RSRC2:TGID_X_EN: 1
; COMPUTE_PGM_RSRC2:TGID_Y_EN: 0
; COMPUTE_PGM_RSRC2:TGID_Z_EN: 0
; COMPUTE_PGM_RSRC2:TIDIG_COMP_CNT: 0
	.text
	.p2alignl 7, 3214868480
	.fill 96, 4, 3214868480
	.type	__hip_cuid_fe0ae1cf274b56fb,@object ; @__hip_cuid_fe0ae1cf274b56fb
	.section	.bss,"aw",@nobits
	.globl	__hip_cuid_fe0ae1cf274b56fb
__hip_cuid_fe0ae1cf274b56fb:
	.byte	0                               ; 0x0
	.size	__hip_cuid_fe0ae1cf274b56fb, 1

	.ident	"AMD clang version 19.0.0git (https://github.com/RadeonOpenCompute/llvm-project roc-6.4.0 25133 c7fe45cf4b819c5991fe208aaa96edf142730f1d)"
	.section	".note.GNU-stack","",@progbits
	.addrsig
	.addrsig_sym __hip_cuid_fe0ae1cf274b56fb
	.amdgpu_metadata
---
amdhsa.kernels:
  - .args:
      - .actual_access:  read_only
        .address_space:  global
        .offset:         0
        .size:           8
        .value_kind:     global_buffer
      - .offset:         8
        .size:           8
        .value_kind:     by_value
      - .actual_access:  read_only
        .address_space:  global
        .offset:         16
        .size:           8
        .value_kind:     global_buffer
      - .actual_access:  read_only
        .address_space:  global
        .offset:         24
        .size:           8
        .value_kind:     global_buffer
      - .offset:         32
        .size:           8
        .value_kind:     by_value
      - .actual_access:  read_only
        .address_space:  global
        .offset:         40
        .size:           8
        .value_kind:     global_buffer
      - .actual_access:  read_only
        .address_space:  global
        .offset:         48
        .size:           8
        .value_kind:     global_buffer
      - .offset:         56
        .size:           4
        .value_kind:     by_value
      - .actual_access:  read_only
        .address_space:  global
        .offset:         64
        .size:           8
        .value_kind:     global_buffer
      - .actual_access:  read_only
        .address_space:  global
        .offset:         72
        .size:           8
        .value_kind:     global_buffer
      - .address_space:  global
        .offset:         80
        .size:           8
        .value_kind:     global_buffer
    .group_segment_fixed_size: 0
    .kernarg_segment_align: 8
    .kernarg_segment_size: 88
    .language:       OpenCL C
    .language_version:
      - 2
      - 0
    .max_flat_workgroup_size: 117
    .name:           fft_rtc_fwd_len702_factors_13_3_6_3_wgs_117_tpt_117_halfLds_sp_ip_CI_unitstride_sbrr_R2C_dirReg
    .private_segment_fixed_size: 0
    .sgpr_count:     34
    .sgpr_spill_count: 0
    .symbol:         fft_rtc_fwd_len702_factors_13_3_6_3_wgs_117_tpt_117_halfLds_sp_ip_CI_unitstride_sbrr_R2C_dirReg.kd
    .uniform_work_group_size: 1
    .uses_dynamic_stack: false
    .vgpr_count:     110
    .vgpr_spill_count: 0
    .wavefront_size: 32
    .workgroup_processor_mode: 1
amdhsa.target:   amdgcn-amd-amdhsa--gfx1201
amdhsa.version:
  - 1
  - 2
...

	.end_amdgpu_metadata
